;; amdgpu-corpus repo=ROCm/rocFFT kind=compiled arch=gfx1030 opt=O3
	.text
	.amdgcn_target "amdgcn-amd-amdhsa--gfx1030"
	.amdhsa_code_object_version 6
	.protected	bluestein_single_back_len162_dim1_dp_op_CI_CI ; -- Begin function bluestein_single_back_len162_dim1_dp_op_CI_CI
	.globl	bluestein_single_back_len162_dim1_dp_op_CI_CI
	.p2align	8
	.type	bluestein_single_back_len162_dim1_dp_op_CI_CI,@function
bluestein_single_back_len162_dim1_dp_op_CI_CI: ; @bluestein_single_back_len162_dim1_dp_op_CI_CI
; %bb.0:
	s_load_dwordx4 s[12:15], s[4:5], 0x28
	v_mul_u32_u24_e32 v1, 0x97c, v0
	s_mov_b32 s0, exec_lo
	v_lshrrev_b32_e32 v1, 16, v1
	v_mad_u64_u32 v[72:73], null, s6, 9, v[1:2]
	v_mov_b32_e32 v73, 0
	s_waitcnt lgkmcnt(0)
	v_cmpx_gt_u64_e64 s[12:13], v[72:73]
	s_cbranch_execz .LBB0_2
; %bb.1:
	s_clause 0x1
	s_load_dwordx4 s[0:3], s[4:5], 0x18
	s_load_dwordx4 s[8:11], s[4:5], 0x0
	v_mul_lo_u16 v1, v1, 27
	v_mul_hi_u32 v48, 0x38e38e39, v72
	s_mov_b32 s7, 0xbfebb67a
	v_mov_b32_e32 v98, 5
	v_mov_b32_e32 v102, 18
	v_sub_nc_u16 v56, v0, v1
	v_lshrrev_b32_e32 v76, 1, v48
	v_and_b32_e32 v75, 0xffff, v56
	v_lshl_add_u32 v76, v76, 3, v76
	v_lshlrev_b32_e32 v71, 4, v75
	s_waitcnt lgkmcnt(0)
	s_load_dwordx4 s[16:19], s[0:1], 0x0
	v_sub_nc_u32_e32 v76, v72, v76
	s_waitcnt lgkmcnt(0)
	v_mad_u64_u32 v[8:9], null, s18, v72, 0
	v_mad_u64_u32 v[16:17], null, s16, v75, 0
	s_mul_i32 s0, s17, 0x1b0
	s_mul_hi_u32 s1, s16, 0x1b0
	s_mul_i32 s6, s16, 0x1b0
	s_add_i32 s1, s1, s0
	v_mov_b32_e32 v0, v9
	v_add_co_u32 v77, s0, s8, v71
	v_mov_b32_e32 v1, v17
	v_add_co_ci_u32_e64 v78, null, s9, 0, s0
	v_mad_u64_u32 v[2:3], null, s19, v72, v[0:1]
	v_mad_u64_u32 v[10:11], null, s17, v75, v[1:2]
	v_mov_b32_e32 v9, v2
	s_clause 0x1
	global_load_dwordx4 v[4:7], v71, s[8:9]
	global_load_dwordx4 v[0:3], v71, s[8:9] offset:432
	v_lshlrev_b64 v[18:19], 4, v[8:9]
	v_mov_b32_e32 v17, v10
	s_clause 0x1
	global_load_dwordx4 v[12:15], v71, s[8:9] offset:864
	global_load_dwordx4 v[8:11], v71, s[8:9] offset:1296
	v_lshlrev_b64 v[16:17], 4, v[16:17]
	v_add_co_u32 v18, vcc_lo, s14, v18
	v_add_co_ci_u32_e32 v19, vcc_lo, s15, v19, vcc_lo
	v_add_co_u32 v16, vcc_lo, v18, v16
	v_add_co_ci_u32_e32 v17, vcc_lo, v19, v17, vcc_lo
	;; [unrolled: 2-line block ×3, first 2 shown]
	global_load_dwordx4 v[24:27], v[16:17], off
	v_add_co_u32 v20, vcc_lo, v18, s6
	v_add_co_ci_u32_e32 v21, vcc_lo, s1, v19, vcc_lo
	v_add_co_u32 v73, vcc_lo, 0x800, v77
	v_add_co_ci_u32_e32 v74, vcc_lo, 0, v78, vcc_lo
	;; [unrolled: 2-line block ×3, first 2 shown]
	s_clause 0x1
	global_load_dwordx4 v[28:31], v[18:19], off
	global_load_dwordx4 v[32:35], v[20:21], off
	v_add_co_u32 v40, vcc_lo, v22, s6
	v_add_co_ci_u32_e32 v41, vcc_lo, s1, v23, vcc_lo
	v_add_co_u32 v44, vcc_lo, v40, s6
	v_add_co_ci_u32_e32 v45, vcc_lo, s1, v41, vcc_lo
	global_load_dwordx4 v[36:39], v[22:23], off
	global_load_dwordx4 v[16:19], v71, s[8:9] offset:1728
	global_load_dwordx4 v[40:43], v[40:41], off
	global_load_dwordx4 v[20:23], v[73:74], off offset:112
	global_load_dwordx4 v[44:47], v[44:45], off
	s_load_dwordx4 s[0:3], s[2:3], 0x0
	s_mov_b32 s8, 0xe8584caa
	s_mov_b32 s9, 0x3febb67a
	;; [unrolled: 1-line block ×3, first 2 shown]
	v_cmp_gt_u16_e32 vcc_lo, 18, v56
	s_waitcnt vmcnt(7)
	v_mul_f64 v[48:49], v[26:27], v[6:7]
	v_mul_f64 v[50:51], v[24:25], v[6:7]
	s_waitcnt vmcnt(6)
	v_mul_f64 v[52:53], v[30:31], v[2:3]
	v_mul_f64 v[54:55], v[28:29], v[2:3]
	;; [unrolled: 3-line block ×6, first 2 shown]
	v_fma_f64 v[24:25], v[24:25], v[4:5], v[48:49]
	v_fma_f64 v[26:27], v[26:27], v[4:5], -v[50:51]
	v_mul_u32_u24_e32 v48, 0xa2, v76
	v_fma_f64 v[28:29], v[28:29], v[0:1], v[52:53]
	v_fma_f64 v[30:31], v[30:31], v[0:1], -v[54:55]
	v_fma_f64 v[32:33], v[32:33], v[12:13], v[57:58]
	v_fma_f64 v[34:35], v[34:35], v[12:13], -v[59:60]
	v_lshlrev_b32_e32 v57, 4, v48
	v_fma_f64 v[36:37], v[36:37], v[8:9], v[61:62]
	v_fma_f64 v[38:39], v[38:39], v[8:9], -v[63:64]
	v_fma_f64 v[40:41], v[40:41], v[16:17], v[65:66]
	v_fma_f64 v[42:43], v[42:43], v[16:17], -v[67:68]
	v_fma_f64 v[44:45], v[44:45], v[20:21], v[69:70]
	v_fma_f64 v[46:47], v[46:47], v[20:21], -v[79:80]
	v_add_nc_u32_e32 v76, v71, v57
	v_and_b32_e32 v64, 0xff, v56
	ds_write_b128 v76, v[24:27]
	ds_write_b128 v76, v[28:31] offset:432
	ds_write_b128 v76, v[32:35] offset:864
	;; [unrolled: 1-line block ×5, first 2 shown]
	s_waitcnt lgkmcnt(0)
	s_barrier
	buffer_gl0_inv
	ds_read_b128 v[24:27], v76 offset:2160
	ds_read_b128 v[28:31], v76 offset:1296
	;; [unrolled: 1-line block ×5, first 2 shown]
	ds_read_b128 v[44:47], v76
	v_mul_lo_u16 v71, 0xab, v64
	v_add_co_u32 v64, null, v75, 27
	s_waitcnt lgkmcnt(0)
	s_barrier
	v_lshrrev_b16 v71, 10, v71
	v_and_b32_e32 v84, 0xff, v64
	buffer_gl0_inv
	v_mul_lo_u16 v100, v84, 57
	v_add_f64 v[48:49], v[30:31], v[26:27]
	v_add_f64 v[50:51], v[28:29], v[24:25]
	v_add_f64 v[52:53], v[30:31], -v[26:27]
	v_add_f64 v[54:55], v[28:29], -v[24:25]
	v_add_f64 v[58:59], v[32:33], v[36:37]
	v_add_f64 v[60:61], v[34:35], v[38:39]
	;; [unrolled: 1-line block ×4, first 2 shown]
	v_lshrrev_b16 v113, 10, v100
	v_fma_f64 v[48:49], v[48:49], -0.5, v[42:43]
	v_fma_f64 v[50:51], v[50:51], -0.5, v[40:41]
	;; [unrolled: 1-line block ×4, first 2 shown]
	v_add_f64 v[28:29], v[28:29], v[24:25]
	v_add_f64 v[30:31], v[30:31], v[26:27]
	v_mul_lo_u16 v24, v71, 6
	v_mul_lo_u16 v25, 0xab, v84
	v_sub_nc_u16 v96, v56, v24
	v_lshrrev_b16 v97, 10, v25
	v_mad_u16 v71, v71, 18, v96
	v_fma_f64 v[62:63], v[54:55], s[6:7], v[48:49]
	v_fma_f64 v[65:66], v[52:53], s[6:7], v[50:51]
	v_fma_f64 v[50:51], v[52:53], s[8:9], v[50:51]
	v_fma_f64 v[48:49], v[54:55], s[8:9], v[48:49]
	v_add_f64 v[52:53], v[44:45], v[32:33]
	v_add_f64 v[54:55], v[34:35], -v[38:39]
	v_add_f64 v[34:35], v[46:47], v[34:35]
	v_add_f64 v[32:33], v[32:33], -v[36:37]
	v_mul_f64 v[44:45], v[62:63], s[8:9]
	v_mul_f64 v[46:47], v[65:66], -0.5
	v_mul_f64 v[58:59], v[50:51], s[6:7]
	v_mul_f64 v[60:61], v[48:49], -0.5
	v_add_f64 v[36:37], v[52:53], v[36:37]
	v_fma_f64 v[52:53], v[54:55], s[8:9], v[40:41]
	v_add_f64 v[34:35], v[34:35], v[38:39]
	v_fma_f64 v[54:55], v[54:55], s[6:7], v[40:41]
	v_fma_f64 v[67:68], v[32:33], s[6:7], v[42:43]
	v_fma_f64 v[69:70], v[32:33], s[8:9], v[42:43]
	v_fma_f64 v[40:41], v[50:51], 0.5, v[44:45]
	v_fma_f64 v[42:43], v[48:49], s[8:9], v[46:47]
	v_fma_f64 v[46:47], v[62:63], 0.5, v[58:59]
	v_fma_f64 v[48:49], v[65:66], s[6:7], v[60:61]
	v_add_f64 v[24:25], v[36:37], v[28:29]
	v_add_f64 v[28:29], v[36:37], -v[28:29]
	v_add_f64 v[26:27], v[34:35], v[30:31]
	v_add_f64 v[30:31], v[34:35], -v[30:31]
	v_mul_lo_u16 v50, v97, 6
	v_sub_nc_u16 v99, v64, v50
	v_add_f64 v[32:33], v[52:53], v[40:41]
	v_add_f64 v[36:37], v[54:55], v[42:43]
	;; [unrolled: 1-line block ×4, first 2 shown]
	v_add_f64 v[40:41], v[52:53], -v[40:41]
	v_add_f64 v[44:45], v[54:55], -v[42:43]
	;; [unrolled: 1-line block ×4, first 2 shown]
	v_mul_lo_u16 v48, v56, 6
	v_lshlrev_b16 v49, 1, v96
	v_mul_lo_u16 v96, v113, 18
	v_and_b32_e32 v48, 0xffff, v48
	v_and_b32_e32 v49, 0xfe, v49
	v_lshl_add_u32 v79, v48, 4, v57
	v_lshlrev_b32_e32 v48, 4, v49
	v_lshlrev_b32_sdwa v49, v98, v99 dst_sel:DWORD dst_unused:UNUSED_PAD src0_sel:DWORD src1_sel:BYTE_0
	ds_write_b128 v79, v[24:27]
	ds_write_b128 v79, v[28:31] offset:48
	ds_write_b128 v79, v[32:35] offset:16
	;; [unrolled: 1-line block ×5, first 2 shown]
	s_waitcnt lgkmcnt(0)
	s_barrier
	buffer_gl0_inv
	s_clause 0x3
	global_load_dwordx4 v[28:31], v48, s[10:11]
	global_load_dwordx4 v[24:27], v48, s[10:11] offset:16
	global_load_dwordx4 v[36:39], v49, s[10:11]
	global_load_dwordx4 v[32:35], v49, s[10:11] offset:16
	ds_read_b128 v[40:43], v76 offset:864
	ds_read_b128 v[44:47], v76 offset:1728
	;; [unrolled: 1-line block ×4, first 2 shown]
	s_waitcnt vmcnt(3) lgkmcnt(3)
	v_mul_f64 v[58:59], v[42:43], v[30:31]
	s_waitcnt vmcnt(2) lgkmcnt(2)
	v_mul_f64 v[60:61], v[46:47], v[26:27]
	v_mul_f64 v[62:63], v[40:41], v[30:31]
	;; [unrolled: 1-line block ×3, first 2 shown]
	s_waitcnt vmcnt(1) lgkmcnt(1)
	v_mul_f64 v[67:68], v[50:51], v[38:39]
	s_waitcnt vmcnt(0) lgkmcnt(0)
	v_mul_f64 v[69:70], v[54:55], v[34:35]
	v_mul_f64 v[80:81], v[48:49], v[38:39]
	;; [unrolled: 1-line block ×3, first 2 shown]
	v_fma_f64 v[58:59], v[40:41], v[28:29], -v[58:59]
	v_fma_f64 v[60:61], v[44:45], v[24:25], -v[60:61]
	v_fma_f64 v[62:63], v[42:43], v[28:29], v[62:63]
	v_fma_f64 v[65:66], v[46:47], v[24:25], v[65:66]
	v_fma_f64 v[48:49], v[48:49], v[36:37], -v[67:68]
	v_fma_f64 v[52:53], v[52:53], v[32:33], -v[69:70]
	v_fma_f64 v[50:51], v[50:51], v[36:37], v[80:81]
	v_fma_f64 v[54:55], v[54:55], v[32:33], v[82:83]
	ds_read_b128 v[40:43], v76
	ds_read_b128 v[44:47], v76 offset:432
	s_waitcnt lgkmcnt(0)
	s_barrier
	buffer_gl0_inv
	v_add_f64 v[67:68], v[58:59], v[60:61]
	v_add_f64 v[69:70], v[62:63], v[65:66]
	;; [unrolled: 1-line block ×6, first 2 shown]
	v_add_f64 v[62:63], v[62:63], -v[65:66]
	v_add_f64 v[58:59], v[58:59], -v[60:61]
	v_add_f64 v[88:89], v[44:45], v[48:49]
	v_add_f64 v[90:91], v[46:47], v[50:51]
	v_add_f64 v[92:93], v[50:51], -v[54:55]
	v_add_f64 v[94:95], v[48:49], -v[52:53]
	v_fma_f64 v[67:68], v[67:68], -0.5, v[40:41]
	v_add_co_u32 v40, s12, 0xffffffee, v75
	v_fma_f64 v[69:70], v[69:70], -0.5, v[42:43]
	v_fma_f64 v[80:81], v[80:81], -0.5, v[44:45]
	v_add_co_ci_u32_e64 v41, null, 0, -1, s12
	v_fma_f64 v[82:83], v[82:83], -0.5, v[46:47]
	v_cndmask_b32_e32 v100, v40, v75, vcc_lo
	v_add_f64 v[42:43], v[86:87], v[65:66]
	v_cndmask_b32_e64 v101, v41, 0, vcc_lo
	v_add_f64 v[40:41], v[84:85], v[60:61]
	v_add_f64 v[44:45], v[88:89], v[52:53]
	;; [unrolled: 1-line block ×3, first 2 shown]
	v_fma_f64 v[48:49], v[62:63], s[8:9], v[67:68]
	v_fma_f64 v[52:53], v[62:63], s[6:7], v[67:68]
	v_lshlrev_b64 v[62:63], 5, v[100:101]
	v_fma_f64 v[50:51], v[58:59], s[6:7], v[69:70]
	v_fma_f64 v[54:55], v[58:59], s[8:9], v[69:70]
	;; [unrolled: 1-line block ×6, first 2 shown]
	v_mul_u32_u24_sdwa v69, v97, v102 dst_sel:DWORD dst_unused:UNUSED_PAD src0_sel:WORD_0 src1_sel:DWORD
	v_and_b32_e32 v70, 0xff, v71
	v_sub_nc_u16 v71, v64, v96
	v_add_co_u32 v62, vcc_lo, s10, v62
	v_add_nc_u32_sdwa v69, v69, v99 dst_sel:DWORD dst_unused:UNUSED_PAD src0_sel:DWORD src1_sel:BYTE_0
	v_add_co_ci_u32_e32 v63, vcc_lo, s11, v63, vcc_lo
	v_lshl_add_u32 v81, v70, 4, v57
	v_lshlrev_b32_sdwa v70, v98, v71 dst_sel:DWORD dst_unused:UNUSED_PAD src0_sel:DWORD src1_sel:BYTE_0
	v_lshl_add_u32 v80, v69, 4, v57
	ds_write_b128 v81, v[40:43]
	ds_write_b128 v81, v[48:51] offset:96
	ds_write_b128 v81, v[52:55] offset:192
	ds_write_b128 v80, v[44:47]
	ds_write_b128 v80, v[58:61] offset:96
	ds_write_b128 v80, v[65:68] offset:192
	s_waitcnt lgkmcnt(0)
	s_barrier
	buffer_gl0_inv
	s_clause 0x3
	global_load_dwordx4 v[44:47], v[62:63], off offset:192
	global_load_dwordx4 v[40:43], v[62:63], off offset:208
	global_load_dwordx4 v[48:51], v70, s[10:11] offset:192
	global_load_dwordx4 v[52:55], v70, s[10:11] offset:208
	ds_read_b128 v[58:61], v76 offset:864
	ds_read_b128 v[65:68], v76 offset:1728
	ds_read_b128 v[82:85], v76 offset:1296
	ds_read_b128 v[86:89], v76 offset:2160
	v_cmp_lt_u16_e32 vcc_lo, 17, v56
	v_cndmask_b32_e64 v56, 0, 54, vcc_lo
	v_add_nc_u32_e32 v56, v100, v56
	s_waitcnt vmcnt(3) lgkmcnt(3)
	v_mul_f64 v[62:63], v[60:61], v[46:47]
	s_waitcnt vmcnt(2) lgkmcnt(2)
	v_mul_f64 v[69:70], v[67:68], v[42:43]
	v_mul_f64 v[90:91], v[58:59], v[46:47]
	;; [unrolled: 1-line block ×3, first 2 shown]
	s_waitcnt vmcnt(1) lgkmcnt(1)
	v_mul_f64 v[94:95], v[84:85], v[50:51]
	s_waitcnt vmcnt(0) lgkmcnt(0)
	v_mul_f64 v[96:97], v[88:89], v[54:55]
	v_mul_f64 v[98:99], v[82:83], v[50:51]
	;; [unrolled: 1-line block ×3, first 2 shown]
	v_fma_f64 v[62:63], v[58:59], v[44:45], -v[62:63]
	v_fma_f64 v[69:70], v[65:66], v[40:41], -v[69:70]
	v_fma_f64 v[90:91], v[60:61], v[44:45], v[90:91]
	v_fma_f64 v[92:93], v[67:68], v[40:41], v[92:93]
	v_fma_f64 v[82:83], v[82:83], v[48:49], -v[94:95]
	v_fma_f64 v[86:87], v[86:87], v[52:53], -v[96:97]
	v_fma_f64 v[84:85], v[84:85], v[48:49], v[98:99]
	v_fma_f64 v[88:89], v[88:89], v[52:53], v[101:102]
	ds_read_b128 v[58:61], v76
	ds_read_b128 v[65:68], v76 offset:432
	s_waitcnt lgkmcnt(0)
	s_barrier
	buffer_gl0_inv
	v_add_f64 v[94:95], v[62:63], v[69:70]
	v_add_f64 v[96:97], v[90:91], v[92:93]
	;; [unrolled: 1-line block ×7, first 2 shown]
	v_add_f64 v[90:91], v[90:91], -v[92:93]
	v_add_f64 v[62:63], v[62:63], -v[69:70]
	v_add_f64 v[107:108], v[67:68], v[84:85]
	v_add_f64 v[111:112], v[84:85], -v[88:89]
	v_add_f64 v[82:83], v[82:83], -v[86:87]
	v_fma_f64 v[94:95], v[94:95], -0.5, v[58:59]
	v_fma_f64 v[96:97], v[96:97], -0.5, v[60:61]
	;; [unrolled: 1-line block ×3, first 2 shown]
	v_add_f64 v[60:61], v[103:104], v[92:93]
	v_fma_f64 v[101:102], v[101:102], -0.5, v[67:68]
	v_add_f64 v[58:59], v[105:106], v[69:70]
	v_add_f64 v[65:66], v[109:110], v[86:87]
	v_lshlrev_b32_e32 v69, 5, v75
	v_add_f64 v[67:68], v[107:108], v[88:89]
	v_fma_f64 v[84:85], v[90:91], s[8:9], v[94:95]
	v_fma_f64 v[88:89], v[90:91], s[6:7], v[94:95]
	;; [unrolled: 1-line block ×8, first 2 shown]
	v_mad_u16 v62, v113, 54, v71
	v_lshl_add_u32 v83, v56, 4, v57
	v_and_b32_e32 v62, 0xff, v62
	v_lshl_add_u32 v82, v62, 4, v57
	ds_write_b128 v83, v[58:61]
	ds_write_b128 v83, v[84:87] offset:288
	ds_write_b128 v83, v[88:91] offset:576
	ds_write_b128 v82, v[65:68]
	ds_write_b128 v82, v[92:95] offset:288
	ds_write_b128 v82, v[96:99] offset:576
	v_lshlrev_b32_e32 v68, 5, v64
	s_waitcnt lgkmcnt(0)
	s_barrier
	buffer_gl0_inv
	s_clause 0x3
	global_load_dwordx4 v[60:63], v69, s[10:11] offset:768
	global_load_dwordx4 v[56:59], v69, s[10:11] offset:784
	;; [unrolled: 1-line block ×4, first 2 shown]
	ds_read_b128 v[84:87], v76 offset:864
	ds_read_b128 v[88:91], v76 offset:1728
	;; [unrolled: 1-line block ×4, first 2 shown]
	s_waitcnt vmcnt(3) lgkmcnt(3)
	v_mul_f64 v[100:101], v[86:87], v[62:63]
	v_mul_f64 v[102:103], v[84:85], v[62:63]
	s_waitcnt vmcnt(2) lgkmcnt(2)
	v_mul_f64 v[104:105], v[90:91], v[58:59]
	v_mul_f64 v[106:107], v[88:89], v[58:59]
	s_waitcnt vmcnt(1) lgkmcnt(1)
	v_mul_f64 v[108:109], v[94:95], v[66:67]
	s_waitcnt vmcnt(0) lgkmcnt(0)
	v_mul_f64 v[110:111], v[98:99], v[70:71]
	v_mul_f64 v[112:113], v[92:93], v[66:67]
	;; [unrolled: 1-line block ×3, first 2 shown]
	v_fma_f64 v[100:101], v[84:85], v[60:61], -v[100:101]
	v_fma_f64 v[102:103], v[86:87], v[60:61], v[102:103]
	v_fma_f64 v[104:105], v[88:89], v[56:57], -v[104:105]
	v_fma_f64 v[106:107], v[90:91], v[56:57], v[106:107]
	v_fma_f64 v[92:93], v[92:93], v[64:65], -v[108:109]
	v_fma_f64 v[96:97], v[96:97], v[68:69], -v[110:111]
	v_fma_f64 v[94:95], v[94:95], v[64:65], v[112:113]
	v_fma_f64 v[98:99], v[98:99], v[68:69], v[114:115]
	ds_read_b128 v[84:87], v76
	ds_read_b128 v[88:91], v76 offset:432
	v_add_f64 v[108:109], v[100:101], v[104:105]
	v_add_f64 v[110:111], v[102:103], v[106:107]
	;; [unrolled: 1-line block ×3, first 2 shown]
	s_waitcnt lgkmcnt(1)
	v_add_f64 v[116:117], v[86:87], v[102:103]
	v_add_f64 v[114:115], v[94:95], v[98:99]
	;; [unrolled: 1-line block ×3, first 2 shown]
	s_waitcnt lgkmcnt(0)
	v_add_f64 v[120:121], v[90:91], v[94:95]
	v_add_f64 v[122:123], v[88:89], v[92:93]
	v_add_f64 v[102:103], v[102:103], -v[106:107]
	v_add_f64 v[100:101], v[100:101], -v[104:105]
	;; [unrolled: 1-line block ×4, first 2 shown]
	v_fma_f64 v[108:109], v[108:109], -0.5, v[84:85]
	v_fma_f64 v[110:111], v[110:111], -0.5, v[86:87]
	;; [unrolled: 1-line block ×3, first 2 shown]
	v_add_f64 v[86:87], v[116:117], v[106:107]
	v_fma_f64 v[114:115], v[114:115], -0.5, v[90:91]
	v_add_f64 v[84:85], v[118:119], v[104:105]
	v_add_f64 v[90:91], v[120:121], v[98:99]
	;; [unrolled: 1-line block ×3, first 2 shown]
	v_fma_f64 v[92:93], v[102:103], s[8:9], v[108:109]
	v_fma_f64 v[94:95], v[100:101], s[6:7], v[110:111]
	;; [unrolled: 1-line block ×8, first 2 shown]
	ds_write_b128 v76, v[84:87]
	ds_write_b128 v76, v[88:91] offset:432
	ds_write_b128 v76, v[92:95] offset:864
	;; [unrolled: 1-line block ×5, first 2 shown]
	s_waitcnt lgkmcnt(0)
	s_barrier
	buffer_gl0_inv
	global_load_dwordx4 v[84:87], v[73:74], off offset:544
	v_add_co_u32 v73, vcc_lo, 0xa20, v77
	v_add_co_ci_u32_e32 v74, vcc_lo, 0, v78, vcc_lo
	s_clause 0x2
	global_load_dwordx4 v[88:91], v[73:74], off offset:432
	global_load_dwordx4 v[92:95], v[73:74], off offset:864
	;; [unrolled: 1-line block ×3, first 2 shown]
	v_add_co_u32 v77, vcc_lo, 0x1000, v77
	v_add_co_ci_u32_e32 v78, vcc_lo, 0, v78, vcc_lo
	s_clause 0x1
	global_load_dwordx4 v[100:103], v[73:74], off offset:1728
	global_load_dwordx4 v[104:107], v[77:78], off offset:656
	ds_read_b128 v[108:111], v76
	ds_read_b128 v[112:115], v76 offset:432
	s_waitcnt vmcnt(5) lgkmcnt(1)
	v_mul_f64 v[73:74], v[110:111], v[86:87]
	v_mul_f64 v[77:78], v[108:109], v[86:87]
	s_waitcnt vmcnt(4) lgkmcnt(0)
	v_mul_f64 v[120:121], v[114:115], v[90:91]
	v_mul_f64 v[90:91], v[112:113], v[90:91]
	v_fma_f64 v[108:109], v[108:109], v[84:85], -v[73:74]
	v_fma_f64 v[110:111], v[110:111], v[84:85], v[77:78]
	ds_read_b128 v[84:87], v76 offset:864
	ds_read_b128 v[116:119], v76 offset:1296
	v_fma_f64 v[112:113], v[112:113], v[88:89], -v[120:121]
	v_fma_f64 v[114:115], v[114:115], v[88:89], v[90:91]
	s_waitcnt vmcnt(3) lgkmcnt(1)
	v_mul_f64 v[73:74], v[86:87], v[94:95]
	v_mul_f64 v[77:78], v[84:85], v[94:95]
	s_waitcnt vmcnt(2) lgkmcnt(0)
	v_mul_f64 v[120:121], v[118:119], v[98:99]
	v_mul_f64 v[98:99], v[116:117], v[98:99]
	v_fma_f64 v[84:85], v[84:85], v[92:93], -v[73:74]
	v_fma_f64 v[86:87], v[86:87], v[92:93], v[77:78]
	ds_read_b128 v[88:91], v76 offset:1728
	ds_read_b128 v[92:95], v76 offset:2160
	v_fma_f64 v[116:117], v[116:117], v[96:97], -v[120:121]
	v_fma_f64 v[118:119], v[118:119], v[96:97], v[98:99]
	s_waitcnt vmcnt(1) lgkmcnt(1)
	v_mul_f64 v[73:74], v[90:91], v[102:103]
	v_mul_f64 v[77:78], v[88:89], v[102:103]
	s_waitcnt vmcnt(0) lgkmcnt(0)
	v_mul_f64 v[96:97], v[94:95], v[106:107]
	v_mul_f64 v[98:99], v[92:93], v[106:107]
	v_fma_f64 v[88:89], v[88:89], v[100:101], -v[73:74]
	v_fma_f64 v[90:91], v[90:91], v[100:101], v[77:78]
	v_fma_f64 v[92:93], v[92:93], v[104:105], -v[96:97]
	v_fma_f64 v[94:95], v[94:95], v[104:105], v[98:99]
	ds_write_b128 v76, v[108:111]
	ds_write_b128 v76, v[112:115] offset:432
	ds_write_b128 v76, v[84:87] offset:864
	;; [unrolled: 1-line block ×5, first 2 shown]
	s_waitcnt lgkmcnt(0)
	s_barrier
	buffer_gl0_inv
	ds_read_b128 v[84:87], v76 offset:1296
	ds_read_b128 v[88:91], v76 offset:2160
	;; [unrolled: 1-line block ×5, first 2 shown]
	ds_read_b128 v[104:107], v76
	s_waitcnt lgkmcnt(0)
	s_barrier
	buffer_gl0_inv
	v_add_f64 v[73:74], v[86:87], v[90:91]
	v_add_f64 v[77:78], v[84:85], v[88:89]
	v_add_f64 v[108:109], v[84:85], -v[88:89]
	v_add_f64 v[110:111], v[96:97], v[100:101]
	v_add_f64 v[112:113], v[98:99], v[102:103]
	v_add_f64 v[114:115], v[86:87], -v[90:91]
	v_add_f64 v[118:119], v[106:107], v[98:99]
	v_add_f64 v[84:85], v[92:93], v[84:85]
	;; [unrolled: 1-line block ×3, first 2 shown]
	v_add_f64 v[98:99], v[98:99], -v[102:103]
	v_fma_f64 v[73:74], v[73:74], -0.5, v[94:95]
	v_fma_f64 v[77:78], v[77:78], -0.5, v[92:93]
	;; [unrolled: 1-line block ×4, first 2 shown]
	v_add_f64 v[102:103], v[118:119], v[102:103]
	v_add_f64 v[88:89], v[84:85], v[88:89]
	;; [unrolled: 1-line block ×3, first 2 shown]
	v_fma_f64 v[116:117], v[108:109], s[8:9], v[73:74]
	v_fma_f64 v[73:74], v[108:109], s[6:7], v[73:74]
	v_add_f64 v[108:109], v[104:105], v[96:97]
	v_add_f64 v[96:97], v[96:97], -v[100:101]
	v_fma_f64 v[104:105], v[114:115], s[6:7], v[77:78]
	v_fma_f64 v[77:78], v[114:115], s[8:9], v[77:78]
	v_add_f64 v[86:87], v[102:103], v[90:91]
	v_add_f64 v[90:91], v[102:103], -v[90:91]
	v_mul_f64 v[106:107], v[116:117], s[6:7]
	v_mul_f64 v[110:111], v[116:117], 0.5
	v_mul_f64 v[112:113], v[73:74], s[6:7]
	v_mul_f64 v[73:74], v[73:74], -0.5
	v_add_f64 v[100:101], v[108:109], v[100:101]
	v_fma_f64 v[108:109], v[98:99], s[6:7], v[92:93]
	v_fma_f64 v[114:115], v[96:97], s[8:9], v[94:95]
	;; [unrolled: 1-line block ×3, first 2 shown]
	v_fma_f64 v[106:107], v[104:105], 0.5, v[106:107]
	v_fma_f64 v[104:105], v[104:105], s[8:9], v[110:111]
	v_fma_f64 v[110:111], v[98:99], s[8:9], v[92:93]
	v_fma_f64 v[112:113], v[77:78], -0.5, v[112:113]
	v_fma_f64 v[73:74], v[77:78], s[8:9], v[73:74]
	v_add_f64 v[84:85], v[100:101], v[88:89]
	v_add_f64 v[88:89], v[100:101], -v[88:89]
	v_add_f64 v[92:93], v[108:109], v[106:107]
	v_add_f64 v[94:95], v[114:115], v[104:105]
	v_add_f64 v[96:97], v[108:109], -v[106:107]
	v_add_f64 v[100:101], v[110:111], v[112:113]
	v_add_f64 v[102:103], v[116:117], v[73:74]
	v_add_f64 v[98:99], v[114:115], -v[104:105]
	v_add_f64 v[104:105], v[110:111], -v[112:113]
	;; [unrolled: 1-line block ×3, first 2 shown]
	ds_write_b128 v79, v[84:87]
	ds_write_b128 v79, v[88:91] offset:48
	ds_write_b128 v79, v[92:95] offset:16
	;; [unrolled: 1-line block ×5, first 2 shown]
	s_waitcnt lgkmcnt(0)
	s_barrier
	buffer_gl0_inv
	ds_read_b128 v[84:87], v76 offset:864
	ds_read_b128 v[88:91], v76 offset:1728
	;; [unrolled: 1-line block ×4, first 2 shown]
	s_waitcnt lgkmcnt(3)
	v_mul_f64 v[73:74], v[30:31], v[86:87]
	s_waitcnt lgkmcnt(2)
	v_mul_f64 v[77:78], v[26:27], v[90:91]
	v_mul_f64 v[30:31], v[30:31], v[84:85]
	v_mul_f64 v[26:27], v[26:27], v[88:89]
	s_waitcnt lgkmcnt(1)
	v_mul_f64 v[100:101], v[38:39], v[94:95]
	s_waitcnt lgkmcnt(0)
	v_mul_f64 v[102:103], v[34:35], v[98:99]
	v_mul_f64 v[38:39], v[38:39], v[92:93]
	;; [unrolled: 1-line block ×3, first 2 shown]
	v_fma_f64 v[73:74], v[28:29], v[84:85], v[73:74]
	v_fma_f64 v[77:78], v[24:25], v[88:89], v[77:78]
	v_fma_f64 v[84:85], v[28:29], v[86:87], -v[30:31]
	v_fma_f64 v[86:87], v[24:25], v[90:91], -v[26:27]
	v_fma_f64 v[88:89], v[36:37], v[92:93], v[100:101]
	v_fma_f64 v[90:91], v[32:33], v[96:97], v[102:103]
	v_fma_f64 v[36:37], v[36:37], v[94:95], -v[38:39]
	v_fma_f64 v[32:33], v[32:33], v[98:99], -v[34:35]
	ds_read_b128 v[24:27], v76
	ds_read_b128 v[28:31], v76 offset:432
	s_waitcnt lgkmcnt(0)
	s_barrier
	buffer_gl0_inv
	v_add_f64 v[34:35], v[73:74], v[77:78]
	v_add_f64 v[38:39], v[84:85], v[86:87]
	;; [unrolled: 1-line block ×7, first 2 shown]
	v_add_f64 v[84:85], v[84:85], -v[86:87]
	v_add_f64 v[73:74], v[73:74], -v[77:78]
	v_add_f64 v[100:101], v[28:29], v[88:89]
	v_add_f64 v[104:105], v[36:37], -v[32:33]
	v_add_f64 v[106:107], v[88:89], -v[90:91]
	v_fma_f64 v[34:35], v[34:35], -0.5, v[24:25]
	v_fma_f64 v[38:39], v[38:39], -0.5, v[26:27]
	;; [unrolled: 1-line block ×3, first 2 shown]
	v_add_f64 v[24:25], v[96:97], v[77:78]
	v_fma_f64 v[94:95], v[94:95], -0.5, v[30:31]
	v_add_f64 v[26:27], v[98:99], v[86:87]
	v_add_f64 v[30:31], v[102:103], v[32:33]
	;; [unrolled: 1-line block ×3, first 2 shown]
	v_fma_f64 v[32:33], v[84:85], s[6:7], v[34:35]
	v_fma_f64 v[36:37], v[84:85], s[8:9], v[34:35]
	;; [unrolled: 1-line block ×8, first 2 shown]
	ds_write_b128 v81, v[24:27]
	ds_write_b128 v81, v[32:35] offset:96
	ds_write_b128 v81, v[36:39] offset:192
	ds_write_b128 v80, v[28:31]
	ds_write_b128 v80, v[84:87] offset:96
	ds_write_b128 v80, v[88:91] offset:192
	s_waitcnt lgkmcnt(0)
	s_barrier
	buffer_gl0_inv
	ds_read_b128 v[24:27], v76 offset:864
	ds_read_b128 v[28:31], v76 offset:1728
	;; [unrolled: 1-line block ×4, first 2 shown]
	s_waitcnt lgkmcnt(3)
	v_mul_f64 v[73:74], v[46:47], v[26:27]
	s_waitcnt lgkmcnt(2)
	v_mul_f64 v[77:78], v[42:43], v[30:31]
	v_mul_f64 v[46:47], v[46:47], v[24:25]
	;; [unrolled: 1-line block ×3, first 2 shown]
	s_waitcnt lgkmcnt(1)
	v_mul_f64 v[79:80], v[50:51], v[34:35]
	s_waitcnt lgkmcnt(0)
	v_mul_f64 v[84:85], v[54:55], v[38:39]
	v_mul_f64 v[50:51], v[50:51], v[32:33]
	;; [unrolled: 1-line block ×3, first 2 shown]
	v_fma_f64 v[73:74], v[44:45], v[24:25], v[73:74]
	v_fma_f64 v[77:78], v[40:41], v[28:29], v[77:78]
	v_fma_f64 v[44:45], v[44:45], v[26:27], -v[46:47]
	v_fma_f64 v[40:41], v[40:41], v[30:31], -v[42:43]
	v_fma_f64 v[32:33], v[48:49], v[32:33], v[79:80]
	v_fma_f64 v[36:37], v[52:53], v[36:37], v[84:85]
	v_fma_f64 v[34:35], v[48:49], v[34:35], -v[50:51]
	v_fma_f64 v[38:39], v[52:53], v[38:39], -v[54:55]
	ds_read_b128 v[24:27], v76
	ds_read_b128 v[28:31], v76 offset:432
	s_waitcnt lgkmcnt(0)
	s_barrier
	buffer_gl0_inv
	v_add_f64 v[42:43], v[73:74], v[77:78]
	v_add_f64 v[46:47], v[44:45], v[40:41]
	v_add_f64 v[54:55], v[44:45], -v[40:41]
	v_add_f64 v[48:49], v[32:33], v[36:37]
	v_add_f64 v[52:53], v[24:25], v[73:74]
	;; [unrolled: 1-line block ×4, first 2 shown]
	v_add_f64 v[73:74], v[73:74], -v[77:78]
	v_add_f64 v[79:80], v[28:29], v[32:33]
	v_add_f64 v[84:85], v[30:31], v[34:35]
	v_add_f64 v[86:87], v[34:35], -v[38:39]
	v_add_f64 v[88:89], v[32:33], -v[36:37]
	v_fma_f64 v[42:43], v[42:43], -0.5, v[24:25]
	v_fma_f64 v[46:47], v[46:47], -0.5, v[26:27]
	;; [unrolled: 1-line block ×3, first 2 shown]
	v_add_f64 v[24:25], v[52:53], v[77:78]
	v_fma_f64 v[50:51], v[50:51], -0.5, v[30:31]
	v_add_f64 v[26:27], v[44:45], v[40:41]
	v_add_f64 v[28:29], v[79:80], v[36:37]
	;; [unrolled: 1-line block ×3, first 2 shown]
	v_fma_f64 v[32:33], v[54:55], s[6:7], v[42:43]
	v_fma_f64 v[36:37], v[54:55], s[8:9], v[42:43]
	;; [unrolled: 1-line block ×8, first 2 shown]
	ds_write_b128 v83, v[24:27]
	ds_write_b128 v83, v[32:35] offset:288
	ds_write_b128 v83, v[36:39] offset:576
	ds_write_b128 v82, v[28:31]
	ds_write_b128 v82, v[40:43] offset:288
	ds_write_b128 v82, v[44:47] offset:576
	s_waitcnt lgkmcnt(0)
	s_barrier
	buffer_gl0_inv
	ds_read_b128 v[24:27], v76 offset:864
	ds_read_b128 v[28:31], v76 offset:1728
	;; [unrolled: 1-line block ×4, first 2 shown]
	s_waitcnt lgkmcnt(3)
	v_mul_f64 v[40:41], v[62:63], v[26:27]
	s_waitcnt lgkmcnt(2)
	v_mul_f64 v[42:43], v[58:59], v[30:31]
	v_mul_f64 v[44:45], v[62:63], v[24:25]
	;; [unrolled: 1-line block ×3, first 2 shown]
	s_waitcnt lgkmcnt(1)
	v_mul_f64 v[48:49], v[66:67], v[34:35]
	s_waitcnt lgkmcnt(0)
	v_mul_f64 v[50:51], v[70:71], v[38:39]
	v_mul_f64 v[52:53], v[66:67], v[32:33]
	;; [unrolled: 1-line block ×3, first 2 shown]
	v_fma_f64 v[40:41], v[60:61], v[24:25], v[40:41]
	v_fma_f64 v[42:43], v[56:57], v[28:29], v[42:43]
	v_fma_f64 v[44:45], v[60:61], v[26:27], -v[44:45]
	v_fma_f64 v[46:47], v[56:57], v[30:31], -v[46:47]
	v_fma_f64 v[32:33], v[64:65], v[32:33], v[48:49]
	v_fma_f64 v[36:37], v[68:69], v[36:37], v[50:51]
	v_fma_f64 v[34:35], v[64:65], v[34:35], -v[52:53]
	v_fma_f64 v[38:39], v[68:69], v[38:39], -v[54:55]
	ds_read_b128 v[24:27], v76
	ds_read_b128 v[28:31], v76 offset:432
	v_add_f64 v[48:49], v[40:41], v[42:43]
	v_add_f64 v[50:51], v[44:45], v[46:47]
	v_add_f64 v[58:59], v[44:45], -v[46:47]
	v_add_f64 v[52:53], v[32:33], v[36:37]
	s_waitcnt lgkmcnt(1)
	v_add_f64 v[56:57], v[24:25], v[40:41]
	v_add_f64 v[54:55], v[34:35], v[38:39]
	;; [unrolled: 1-line block ×3, first 2 shown]
	s_waitcnt lgkmcnt(0)
	v_add_f64 v[60:61], v[28:29], v[32:33]
	v_add_f64 v[62:63], v[30:31], v[34:35]
	v_add_f64 v[40:41], v[40:41], -v[42:43]
	v_add_f64 v[64:65], v[34:35], -v[38:39]
	;; [unrolled: 1-line block ×3, first 2 shown]
	v_fma_f64 v[48:49], v[48:49], -0.5, v[24:25]
	v_fma_f64 v[50:51], v[50:51], -0.5, v[26:27]
	;; [unrolled: 1-line block ×3, first 2 shown]
	v_add_f64 v[24:25], v[56:57], v[42:43]
	v_fma_f64 v[54:55], v[54:55], -0.5, v[30:31]
	v_add_f64 v[26:27], v[44:45], v[46:47]
	v_add_f64 v[28:29], v[60:61], v[36:37]
	;; [unrolled: 1-line block ×3, first 2 shown]
	v_fma_f64 v[32:33], v[58:59], s[6:7], v[48:49]
	v_fma_f64 v[36:37], v[58:59], s[8:9], v[48:49]
	;; [unrolled: 1-line block ×8, first 2 shown]
	v_mad_u64_u32 v[48:49], null, s2, v72, 0
	v_mad_u64_u32 v[50:51], null, s0, v75, 0
	ds_write_b128 v76, v[24:27]
	ds_write_b128 v76, v[28:31] offset:432
	ds_write_b128 v76, v[32:35] offset:864
	ds_write_b128 v76, v[36:39] offset:1728
	ds_write_b128 v76, v[40:43] offset:1296
	ds_write_b128 v76, v[44:47] offset:2160
	s_waitcnt lgkmcnt(0)
	s_barrier
	buffer_gl0_inv
	ds_read_b128 v[24:27], v76
	ds_read_b128 v[28:31], v76 offset:432
	v_mov_b32_e32 v40, v49
	ds_read_b128 v[32:35], v76 offset:864
	ds_read_b128 v[36:39], v76 offset:1296
	v_mov_b32_e32 v49, v51
	s_mul_hi_u32 s6, s0, 0x1b0
	s_mulk_i32 s0, 0x1b0
	v_mad_u64_u32 v[51:52], null, s3, v72, v[40:41]
	ds_read_b128 v[40:43], v76 offset:1728
	ds_read_b128 v[44:47], v76 offset:2160
	v_mad_u64_u32 v[52:53], null, s1, v75, v[49:50]
	s_load_dwordx2 s[2:3], s[4:5], 0x38
	s_mov_b32 s4, 0xfcd6e9e0
	s_mov_b32 s5, 0x3f7948b0
	v_mov_b32_e32 v49, v51
	s_mulk_i32 s1, 0x1b0
	v_mov_b32_e32 v51, v52
	s_add_i32 s6, s6, s1
	s_waitcnt lgkmcnt(0)
	v_mul_f64 v[52:53], v[6:7], v[26:27]
	v_mul_f64 v[6:7], v[6:7], v[24:25]
	;; [unrolled: 1-line block ×12, first 2 shown]
	v_lshlrev_b64 v[48:49], 4, v[48:49]
	v_lshlrev_b64 v[50:51], 4, v[50:51]
	v_add_co_u32 v48, vcc_lo, s2, v48
	v_add_co_ci_u32_e32 v49, vcc_lo, s3, v49, vcc_lo
	v_fma_f64 v[24:25], v[4:5], v[24:25], v[52:53]
	v_fma_f64 v[4:5], v[4:5], v[26:27], -v[6:7]
	v_fma_f64 v[6:7], v[0:1], v[28:29], v[54:55]
	v_fma_f64 v[26:27], v[0:1], v[30:31], -v[2:3]
	;; [unrolled: 2-line block ×6, first 2 shown]
	v_add_co_u32 v36, vcc_lo, v48, v50
	v_add_co_ci_u32_e32 v37, vcc_lo, v49, v51, vcc_lo
	v_add_co_u32 v38, vcc_lo, v36, s0
	v_add_co_ci_u32_e32 v39, vcc_lo, s6, v37, vcc_lo
	v_mul_f64 v[0:1], v[24:25], s[4:5]
	v_mul_f64 v[2:3], v[4:5], s[4:5]
	;; [unrolled: 1-line block ×12, first 2 shown]
	v_add_co_u32 v24, vcc_lo, v38, s0
	v_add_co_ci_u32_e32 v25, vcc_lo, s6, v39, vcc_lo
	v_add_co_u32 v26, vcc_lo, v24, s0
	v_add_co_ci_u32_e32 v27, vcc_lo, s6, v25, vcc_lo
	;; [unrolled: 2-line block ×4, first 2 shown]
	global_store_dwordx4 v[36:37], v[0:3], off
	global_store_dwordx4 v[38:39], v[4:7], off
	;; [unrolled: 1-line block ×6, first 2 shown]
.LBB0_2:
	s_endpgm
	.section	.rodata,"a",@progbits
	.p2align	6, 0x0
	.amdhsa_kernel bluestein_single_back_len162_dim1_dp_op_CI_CI
		.amdhsa_group_segment_fixed_size 23328
		.amdhsa_private_segment_fixed_size 0
		.amdhsa_kernarg_size 104
		.amdhsa_user_sgpr_count 6
		.amdhsa_user_sgpr_private_segment_buffer 1
		.amdhsa_user_sgpr_dispatch_ptr 0
		.amdhsa_user_sgpr_queue_ptr 0
		.amdhsa_user_sgpr_kernarg_segment_ptr 1
		.amdhsa_user_sgpr_dispatch_id 0
		.amdhsa_user_sgpr_flat_scratch_init 0
		.amdhsa_user_sgpr_private_segment_size 0
		.amdhsa_wavefront_size32 1
		.amdhsa_uses_dynamic_stack 0
		.amdhsa_system_sgpr_private_segment_wavefront_offset 0
		.amdhsa_system_sgpr_workgroup_id_x 1
		.amdhsa_system_sgpr_workgroup_id_y 0
		.amdhsa_system_sgpr_workgroup_id_z 0
		.amdhsa_system_sgpr_workgroup_info 0
		.amdhsa_system_vgpr_workitem_id 0
		.amdhsa_next_free_vgpr 128
		.amdhsa_next_free_sgpr 20
		.amdhsa_reserve_vcc 1
		.amdhsa_reserve_flat_scratch 0
		.amdhsa_float_round_mode_32 0
		.amdhsa_float_round_mode_16_64 0
		.amdhsa_float_denorm_mode_32 3
		.amdhsa_float_denorm_mode_16_64 3
		.amdhsa_dx10_clamp 1
		.amdhsa_ieee_mode 1
		.amdhsa_fp16_overflow 0
		.amdhsa_workgroup_processor_mode 1
		.amdhsa_memory_ordered 1
		.amdhsa_forward_progress 0
		.amdhsa_shared_vgpr_count 0
		.amdhsa_exception_fp_ieee_invalid_op 0
		.amdhsa_exception_fp_denorm_src 0
		.amdhsa_exception_fp_ieee_div_zero 0
		.amdhsa_exception_fp_ieee_overflow 0
		.amdhsa_exception_fp_ieee_underflow 0
		.amdhsa_exception_fp_ieee_inexact 0
		.amdhsa_exception_int_div_zero 0
	.end_amdhsa_kernel
	.text
.Lfunc_end0:
	.size	bluestein_single_back_len162_dim1_dp_op_CI_CI, .Lfunc_end0-bluestein_single_back_len162_dim1_dp_op_CI_CI
                                        ; -- End function
	.section	.AMDGPU.csdata,"",@progbits
; Kernel info:
; codeLenInByte = 6240
; NumSgprs: 22
; NumVgprs: 128
; ScratchSize: 0
; MemoryBound: 0
; FloatMode: 240
; IeeeMode: 1
; LDSByteSize: 23328 bytes/workgroup (compile time only)
; SGPRBlocks: 2
; VGPRBlocks: 15
; NumSGPRsForWavesPerEU: 22
; NumVGPRsForWavesPerEU: 128
; Occupancy: 8
; WaveLimiterHint : 1
; COMPUTE_PGM_RSRC2:SCRATCH_EN: 0
; COMPUTE_PGM_RSRC2:USER_SGPR: 6
; COMPUTE_PGM_RSRC2:TRAP_HANDLER: 0
; COMPUTE_PGM_RSRC2:TGID_X_EN: 1
; COMPUTE_PGM_RSRC2:TGID_Y_EN: 0
; COMPUTE_PGM_RSRC2:TGID_Z_EN: 0
; COMPUTE_PGM_RSRC2:TIDIG_COMP_CNT: 0
	.text
	.p2alignl 6, 3214868480
	.fill 48, 4, 3214868480
	.type	__hip_cuid_2f00e07d7ed3f3a1,@object ; @__hip_cuid_2f00e07d7ed3f3a1
	.section	.bss,"aw",@nobits
	.globl	__hip_cuid_2f00e07d7ed3f3a1
__hip_cuid_2f00e07d7ed3f3a1:
	.byte	0                               ; 0x0
	.size	__hip_cuid_2f00e07d7ed3f3a1, 1

	.ident	"AMD clang version 19.0.0git (https://github.com/RadeonOpenCompute/llvm-project roc-6.4.0 25133 c7fe45cf4b819c5991fe208aaa96edf142730f1d)"
	.section	".note.GNU-stack","",@progbits
	.addrsig
	.addrsig_sym __hip_cuid_2f00e07d7ed3f3a1
	.amdgpu_metadata
---
amdhsa.kernels:
  - .args:
      - .actual_access:  read_only
        .address_space:  global
        .offset:         0
        .size:           8
        .value_kind:     global_buffer
      - .actual_access:  read_only
        .address_space:  global
        .offset:         8
        .size:           8
        .value_kind:     global_buffer
      - .actual_access:  read_only
        .address_space:  global
        .offset:         16
        .size:           8
        .value_kind:     global_buffer
      - .actual_access:  read_only
        .address_space:  global
        .offset:         24
        .size:           8
        .value_kind:     global_buffer
      - .actual_access:  read_only
        .address_space:  global
        .offset:         32
        .size:           8
        .value_kind:     global_buffer
      - .offset:         40
        .size:           8
        .value_kind:     by_value
      - .address_space:  global
        .offset:         48
        .size:           8
        .value_kind:     global_buffer
      - .address_space:  global
        .offset:         56
        .size:           8
        .value_kind:     global_buffer
      - .address_space:  global
        .offset:         64
        .size:           8
        .value_kind:     global_buffer
      - .address_space:  global
        .offset:         72
        .size:           8
        .value_kind:     global_buffer
      - .offset:         80
        .size:           4
        .value_kind:     by_value
      - .address_space:  global
        .offset:         88
        .size:           8
        .value_kind:     global_buffer
      - .address_space:  global
        .offset:         96
        .size:           8
        .value_kind:     global_buffer
    .group_segment_fixed_size: 23328
    .kernarg_segment_align: 8
    .kernarg_segment_size: 104
    .language:       OpenCL C
    .language_version:
      - 2
      - 0
    .max_flat_workgroup_size: 243
    .name:           bluestein_single_back_len162_dim1_dp_op_CI_CI
    .private_segment_fixed_size: 0
    .sgpr_count:     22
    .sgpr_spill_count: 0
    .symbol:         bluestein_single_back_len162_dim1_dp_op_CI_CI.kd
    .uniform_work_group_size: 1
    .uses_dynamic_stack: false
    .vgpr_count:     128
    .vgpr_spill_count: 0
    .wavefront_size: 32
    .workgroup_processor_mode: 1
amdhsa.target:   amdgcn-amd-amdhsa--gfx1030
amdhsa.version:
  - 1
  - 2
...

	.end_amdgpu_metadata
